;; amdgpu-corpus repo=ROCm/rocFFT kind=compiled arch=gfx1030 opt=O3
	.text
	.amdgcn_target "amdgcn-amd-amdhsa--gfx1030"
	.amdhsa_code_object_version 6
	.protected	fft_rtc_back_len1800_factors_10_6_10_3_wgs_180_tpt_180_halfLds_half_op_CI_CI_unitstride_sbrr_dirReg ; -- Begin function fft_rtc_back_len1800_factors_10_6_10_3_wgs_180_tpt_180_halfLds_half_op_CI_CI_unitstride_sbrr_dirReg
	.globl	fft_rtc_back_len1800_factors_10_6_10_3_wgs_180_tpt_180_halfLds_half_op_CI_CI_unitstride_sbrr_dirReg
	.p2align	8
	.type	fft_rtc_back_len1800_factors_10_6_10_3_wgs_180_tpt_180_halfLds_half_op_CI_CI_unitstride_sbrr_dirReg,@function
fft_rtc_back_len1800_factors_10_6_10_3_wgs_180_tpt_180_halfLds_half_op_CI_CI_unitstride_sbrr_dirReg: ; @fft_rtc_back_len1800_factors_10_6_10_3_wgs_180_tpt_180_halfLds_half_op_CI_CI_unitstride_sbrr_dirReg
; %bb.0:
	s_clause 0x2
	s_load_dwordx4 s[8:11], s[4:5], 0x0
	s_load_dwordx4 s[12:15], s[4:5], 0x58
	;; [unrolled: 1-line block ×3, first 2 shown]
	v_mul_u32_u24_e32 v1, 0x16d, v0
	v_mov_b32_e32 v7, 0
	v_mov_b32_e32 v5, 0
	;; [unrolled: 1-line block ×3, first 2 shown]
	v_add_nc_u32_sdwa v9, s6, v1 dst_sel:DWORD dst_unused:UNUSED_PAD src0_sel:DWORD src1_sel:WORD_1
	v_mov_b32_e32 v10, v7
	s_waitcnt lgkmcnt(0)
	v_cmp_lt_u64_e64 s0, s[10:11], 2
	s_and_b32 vcc_lo, exec_lo, s0
	s_cbranch_vccnz .LBB0_8
; %bb.1:
	s_load_dwordx2 s[0:1], s[4:5], 0x10
	v_mov_b32_e32 v5, 0
	v_mov_b32_e32 v6, 0
	s_add_u32 s2, s18, 8
	s_addc_u32 s3, s19, 0
	v_mov_b32_e32 v1, v5
	s_add_u32 s6, s16, 8
	v_mov_b32_e32 v2, v6
	s_addc_u32 s7, s17, 0
	s_mov_b64 s[22:23], 1
	s_waitcnt lgkmcnt(0)
	s_add_u32 s20, s0, 8
	s_addc_u32 s21, s1, 0
.LBB0_2:                                ; =>This Inner Loop Header: Depth=1
	s_load_dwordx2 s[24:25], s[20:21], 0x0
                                        ; implicit-def: $vgpr3_vgpr4
	s_mov_b32 s0, exec_lo
	s_waitcnt lgkmcnt(0)
	v_or_b32_e32 v8, s25, v10
	v_cmpx_ne_u64_e32 0, v[7:8]
	s_xor_b32 s1, exec_lo, s0
	s_cbranch_execz .LBB0_4
; %bb.3:                                ;   in Loop: Header=BB0_2 Depth=1
	v_cvt_f32_u32_e32 v3, s24
	v_cvt_f32_u32_e32 v4, s25
	s_sub_u32 s0, 0, s24
	s_subb_u32 s26, 0, s25
	v_fmac_f32_e32 v3, 0x4f800000, v4
	v_rcp_f32_e32 v3, v3
	v_mul_f32_e32 v3, 0x5f7ffffc, v3
	v_mul_f32_e32 v4, 0x2f800000, v3
	v_trunc_f32_e32 v4, v4
	v_fmac_f32_e32 v3, 0xcf800000, v4
	v_cvt_u32_f32_e32 v4, v4
	v_cvt_u32_f32_e32 v3, v3
	v_mul_lo_u32 v8, s0, v4
	v_mul_hi_u32 v11, s0, v3
	v_mul_lo_u32 v12, s26, v3
	v_add_nc_u32_e32 v8, v11, v8
	v_mul_lo_u32 v11, s0, v3
	v_add_nc_u32_e32 v8, v8, v12
	v_mul_hi_u32 v12, v3, v11
	v_mul_lo_u32 v13, v3, v8
	v_mul_hi_u32 v14, v3, v8
	v_mul_hi_u32 v15, v4, v11
	v_mul_lo_u32 v11, v4, v11
	v_mul_hi_u32 v16, v4, v8
	v_mul_lo_u32 v8, v4, v8
	v_add_co_u32 v12, vcc_lo, v12, v13
	v_add_co_ci_u32_e32 v13, vcc_lo, 0, v14, vcc_lo
	v_add_co_u32 v11, vcc_lo, v12, v11
	v_add_co_ci_u32_e32 v11, vcc_lo, v13, v15, vcc_lo
	v_add_co_ci_u32_e32 v12, vcc_lo, 0, v16, vcc_lo
	v_add_co_u32 v8, vcc_lo, v11, v8
	v_add_co_ci_u32_e32 v11, vcc_lo, 0, v12, vcc_lo
	v_add_co_u32 v3, vcc_lo, v3, v8
	v_add_co_ci_u32_e32 v4, vcc_lo, v4, v11, vcc_lo
	v_mul_hi_u32 v8, s0, v3
	v_mul_lo_u32 v12, s26, v3
	v_mul_lo_u32 v11, s0, v4
	v_add_nc_u32_e32 v8, v8, v11
	v_mul_lo_u32 v11, s0, v3
	v_add_nc_u32_e32 v8, v8, v12
	v_mul_hi_u32 v12, v3, v11
	v_mul_lo_u32 v13, v3, v8
	v_mul_hi_u32 v14, v3, v8
	v_mul_hi_u32 v15, v4, v11
	v_mul_lo_u32 v11, v4, v11
	v_mul_hi_u32 v16, v4, v8
	v_mul_lo_u32 v8, v4, v8
	v_add_co_u32 v12, vcc_lo, v12, v13
	v_add_co_ci_u32_e32 v13, vcc_lo, 0, v14, vcc_lo
	v_add_co_u32 v11, vcc_lo, v12, v11
	v_add_co_ci_u32_e32 v11, vcc_lo, v13, v15, vcc_lo
	v_add_co_ci_u32_e32 v12, vcc_lo, 0, v16, vcc_lo
	v_add_co_u32 v8, vcc_lo, v11, v8
	v_add_co_ci_u32_e32 v11, vcc_lo, 0, v12, vcc_lo
	v_add_co_u32 v8, vcc_lo, v3, v8
	v_add_co_ci_u32_e32 v13, vcc_lo, v4, v11, vcc_lo
	v_mul_hi_u32 v15, v9, v8
	v_mad_u64_u32 v[11:12], null, v10, v8, 0
	v_mad_u64_u32 v[3:4], null, v9, v13, 0
	;; [unrolled: 1-line block ×3, first 2 shown]
	v_add_co_u32 v3, vcc_lo, v15, v3
	v_add_co_ci_u32_e32 v4, vcc_lo, 0, v4, vcc_lo
	v_add_co_u32 v3, vcc_lo, v3, v11
	v_add_co_ci_u32_e32 v3, vcc_lo, v4, v12, vcc_lo
	v_add_co_ci_u32_e32 v4, vcc_lo, 0, v14, vcc_lo
	v_add_co_u32 v8, vcc_lo, v3, v13
	v_add_co_ci_u32_e32 v11, vcc_lo, 0, v4, vcc_lo
	v_mul_lo_u32 v12, s25, v8
	v_mad_u64_u32 v[3:4], null, s24, v8, 0
	v_mul_lo_u32 v13, s24, v11
	v_sub_co_u32 v3, vcc_lo, v9, v3
	v_add3_u32 v4, v4, v13, v12
	v_sub_nc_u32_e32 v12, v10, v4
	v_subrev_co_ci_u32_e64 v12, s0, s25, v12, vcc_lo
	v_add_co_u32 v13, s0, v8, 2
	v_add_co_ci_u32_e64 v14, s0, 0, v11, s0
	v_sub_co_u32 v15, s0, v3, s24
	v_sub_co_ci_u32_e32 v4, vcc_lo, v10, v4, vcc_lo
	v_subrev_co_ci_u32_e64 v12, s0, 0, v12, s0
	v_cmp_le_u32_e32 vcc_lo, s24, v15
	v_cmp_eq_u32_e64 s0, s25, v4
	v_cndmask_b32_e64 v15, 0, -1, vcc_lo
	v_cmp_le_u32_e32 vcc_lo, s25, v12
	v_cndmask_b32_e64 v16, 0, -1, vcc_lo
	v_cmp_le_u32_e32 vcc_lo, s24, v3
	;; [unrolled: 2-line block ×3, first 2 shown]
	v_cndmask_b32_e64 v17, 0, -1, vcc_lo
	v_cmp_eq_u32_e32 vcc_lo, s25, v12
	v_cndmask_b32_e64 v3, v17, v3, s0
	v_cndmask_b32_e32 v12, v16, v15, vcc_lo
	v_add_co_u32 v15, vcc_lo, v8, 1
	v_add_co_ci_u32_e32 v16, vcc_lo, 0, v11, vcc_lo
	v_cmp_ne_u32_e32 vcc_lo, 0, v12
	v_cndmask_b32_e32 v4, v16, v14, vcc_lo
	v_cndmask_b32_e32 v12, v15, v13, vcc_lo
	v_cmp_ne_u32_e32 vcc_lo, 0, v3
	v_cndmask_b32_e32 v4, v11, v4, vcc_lo
	v_cndmask_b32_e32 v3, v8, v12, vcc_lo
.LBB0_4:                                ;   in Loop: Header=BB0_2 Depth=1
	s_andn2_saveexec_b32 s0, s1
	s_cbranch_execz .LBB0_6
; %bb.5:                                ;   in Loop: Header=BB0_2 Depth=1
	v_cvt_f32_u32_e32 v3, s24
	s_sub_i32 s1, 0, s24
	v_rcp_iflag_f32_e32 v3, v3
	v_mul_f32_e32 v3, 0x4f7ffffe, v3
	v_cvt_u32_f32_e32 v3, v3
	v_mul_lo_u32 v4, s1, v3
	v_mul_hi_u32 v4, v3, v4
	v_add_nc_u32_e32 v3, v3, v4
	v_mul_hi_u32 v3, v9, v3
	v_mul_lo_u32 v4, v3, s24
	v_add_nc_u32_e32 v8, 1, v3
	v_sub_nc_u32_e32 v4, v9, v4
	v_subrev_nc_u32_e32 v11, s24, v4
	v_cmp_le_u32_e32 vcc_lo, s24, v4
	v_cndmask_b32_e32 v4, v4, v11, vcc_lo
	v_cndmask_b32_e32 v3, v3, v8, vcc_lo
	v_cmp_le_u32_e32 vcc_lo, s24, v4
	v_add_nc_u32_e32 v8, 1, v3
	v_mov_b32_e32 v4, v7
	v_cndmask_b32_e32 v3, v3, v8, vcc_lo
.LBB0_6:                                ;   in Loop: Header=BB0_2 Depth=1
	s_or_b32 exec_lo, exec_lo, s0
	v_mul_lo_u32 v8, v4, s24
	v_mul_lo_u32 v13, v3, s25
	s_load_dwordx2 s[0:1], s[6:7], 0x0
	v_mad_u64_u32 v[11:12], null, v3, s24, 0
	s_load_dwordx2 s[24:25], s[2:3], 0x0
	s_add_u32 s22, s22, 1
	s_addc_u32 s23, s23, 0
	s_add_u32 s2, s2, 8
	s_addc_u32 s3, s3, 0
	s_add_u32 s6, s6, 8
	v_add3_u32 v8, v12, v13, v8
	v_sub_co_u32 v9, vcc_lo, v9, v11
	s_addc_u32 s7, s7, 0
	s_add_u32 s20, s20, 8
	v_sub_co_ci_u32_e32 v8, vcc_lo, v10, v8, vcc_lo
	s_addc_u32 s21, s21, 0
	s_waitcnt lgkmcnt(0)
	v_mul_lo_u32 v10, s0, v8
	v_mul_lo_u32 v11, s1, v9
	v_mad_u64_u32 v[5:6], null, s0, v9, v[5:6]
	v_mul_lo_u32 v8, s24, v8
	v_mul_lo_u32 v12, s25, v9
	v_mad_u64_u32 v[1:2], null, s24, v9, v[1:2]
	v_cmp_ge_u64_e64 s0, s[22:23], s[10:11]
	v_add3_u32 v6, v11, v6, v10
	v_add3_u32 v2, v12, v2, v8
	s_and_b32 vcc_lo, exec_lo, s0
	s_cbranch_vccnz .LBB0_9
; %bb.7:                                ;   in Loop: Header=BB0_2 Depth=1
	v_mov_b32_e32 v10, v4
	v_mov_b32_e32 v9, v3
	s_branch .LBB0_2
.LBB0_8:
	v_mov_b32_e32 v1, v5
	v_mov_b32_e32 v3, v9
	;; [unrolled: 1-line block ×4, first 2 shown]
.LBB0_9:
	s_load_dwordx2 s[0:1], s[4:5], 0x28
	v_mul_hi_u32 v21, 0x16c16c2, v0
	s_lshl_b64 s[4:5], s[10:11], 3
                                        ; implicit-def: $vgpr7
	s_add_u32 s2, s18, s4
	s_addc_u32 s3, s19, s5
	s_waitcnt lgkmcnt(0)
	v_cmp_gt_u64_e32 vcc_lo, s[0:1], v[3:4]
	v_cmp_le_u64_e64 s0, s[0:1], v[3:4]
	s_and_saveexec_b32 s1, s0
	s_xor_b32 s0, exec_lo, s1
; %bb.10:
	v_mul_u32_u24_e32 v5, 0xb4, v21
                                        ; implicit-def: $vgpr21
	v_sub_nc_u32_e32 v7, v0, v5
                                        ; implicit-def: $vgpr0
                                        ; implicit-def: $vgpr5_vgpr6
; %bb.11:
	s_or_saveexec_b32 s1, s0
                                        ; implicit-def: $vgpr11
                                        ; implicit-def: $vgpr12
                                        ; implicit-def: $vgpr20
                                        ; implicit-def: $vgpr32
                                        ; implicit-def: $vgpr13
                                        ; implicit-def: $vgpr14
                                        ; implicit-def: $vgpr24
                                        ; implicit-def: $vgpr28
                                        ; implicit-def: $vgpr16
                                        ; implicit-def: $vgpr15
                                        ; implicit-def: $vgpr29
                                        ; implicit-def: $vgpr30
                                        ; implicit-def: $vgpr17
                                        ; implicit-def: $vgpr19
                                        ; implicit-def: $vgpr31
                                        ; implicit-def: $vgpr33
                                        ; implicit-def: $vgpr18
                                        ; implicit-def: $vgpr9
                                        ; implicit-def: $vgpr10
                                        ; implicit-def: $vgpr8
	s_xor_b32 exec_lo, exec_lo, s1
	s_cbranch_execz .LBB0_13
; %bb.12:
	s_add_u32 s4, s16, s4
	s_addc_u32 s5, s17, s5
	v_lshlrev_b64 v[5:6], 2, v[5:6]
	s_load_dwordx2 s[4:5], s[4:5], 0x0
	s_waitcnt lgkmcnt(0)
	v_mul_lo_u32 v9, s5, v3
	v_mul_lo_u32 v10, s4, v4
	v_mad_u64_u32 v[7:8], null, s4, v3, 0
	v_add3_u32 v8, v8, v10, v9
	v_mul_u32_u24_e32 v10, 0xb4, v21
	v_lshlrev_b64 v[8:9], 2, v[7:8]
	v_sub_nc_u32_e32 v7, v0, v10
	v_add_co_u32 v0, s0, s12, v8
	v_add_co_ci_u32_e64 v8, s0, s13, v9, s0
	v_lshlrev_b32_e32 v9, 2, v7
	v_add_co_u32 v0, s0, v0, v5
	v_add_co_ci_u32_e64 v6, s0, v8, v6, s0
	v_add_co_u32 v5, s0, v0, v9
	v_add_co_ci_u32_e64 v6, s0, 0, v6, s0
	;; [unrolled: 2-line block ×5, first 2 shown]
	s_clause 0x9
	global_load_dword v8, v[5:6], off
	global_load_dword v9, v[5:6], off offset:720
	global_load_dword v33, v[5:6], off offset:1440
	;; [unrolled: 1-line block ×9, first 2 shown]
	s_waitcnt vmcnt(9)
	v_lshrrev_b32_e32 v10, 16, v8
	s_waitcnt vmcnt(8)
	v_lshrrev_b32_e32 v18, 16, v9
	;; [unrolled: 2-line block ×10, first 2 shown]
.LBB0_13:
	s_or_b32 exec_lo, exec_lo, s1
	v_add_f16_e32 v0, v28, v30
	v_sub_f16_e32 v21, v31, v20
	v_add_f16_e32 v25, v32, v33
	v_add_f16_e32 v5, v33, v8
	v_sub_f16_e32 v22, v29, v24
	v_fma_f16 v0, -0.5, v0, v8
	v_sub_f16_e32 v6, v33, v30
	v_sub_f16_e32 v23, v32, v28
	v_fmac_f16_e32 v8, -0.5, v25
	v_sub_f16_e32 v26, v30, v33
	v_fmamk_f16 v27, v21, 0xbb9c, v0
	v_fmac_f16_e32 v0, 0x3b9c, v21
	v_add_f16_e32 v6, v23, v6
	v_add_f16_e32 v23, v14, v15
	v_fmamk_f16 v25, v22, 0x3b9c, v8
	v_fmac_f16_e32 v27, 0xb8b4, v22
	v_fmac_f16_e32 v0, 0x38b4, v22
	v_sub_f16_e32 v34, v28, v32
	v_fmac_f16_e32 v8, 0xbb9c, v22
	v_add_f16_e32 v22, v19, v9
	v_fmac_f16_e32 v27, 0x34f2, v6
	v_fmac_f16_e32 v0, 0x34f2, v6
	v_fma_f16 v6, -0.5, v23, v9
	v_sub_f16_e32 v23, v17, v11
	v_fmac_f16_e32 v25, 0xb8b4, v21
	v_add_f16_e32 v26, v34, v26
	v_fmac_f16_e32 v8, 0x38b4, v21
	v_add_f16_e32 v21, v15, v22
	v_add_f16_e32 v22, v12, v19
	v_fmamk_f16 v34, v23, 0xbb9c, v6
	v_sub_f16_e32 v38, v16, v13
	v_sub_f16_e32 v35, v19, v15
	;; [unrolled: 1-line block ×3, first 2 shown]
	v_fmac_f16_e32 v25, 0x34f2, v26
	v_fmac_f16_e32 v8, 0x34f2, v26
	v_fmac_f16_e32 v9, -0.5, v22
	v_add_f16_e32 v22, v13, v16
	v_fmac_f16_e32 v6, 0x3b9c, v23
	v_sub_f16_e32 v26, v15, v19
	v_sub_f16_e32 v37, v14, v12
	v_fmac_f16_e32 v34, 0xb8b4, v38
	v_add_f16_e32 v39, v36, v35
	v_fma_f16 v35, -0.5, v22, v18
	v_fmac_f16_e32 v6, 0x38b4, v38
	v_add_f16_e32 v22, v37, v26
	v_add_f16_e32 v26, v11, v17
	;; [unrolled: 1-line block ×3, first 2 shown]
	v_fmac_f16_e32 v34, 0x34f2, v39
	v_sub_f16_e32 v19, v19, v12
	v_sub_f16_e32 v14, v15, v14
	v_fmac_f16_e32 v6, 0x34f2, v39
	v_fma_f16 v39, -0.5, v26, v18
	v_fmamk_f16 v36, v38, 0x3b9c, v9
	v_fmamk_f16 v37, v19, 0x3b9c, v35
	v_fmac_f16_e32 v9, 0xbb9c, v38
	v_sub_f16_e32 v15, v17, v16
	v_sub_f16_e32 v26, v11, v13
	v_fmamk_f16 v38, v14, 0xbb9c, v39
	v_sub_f16_e32 v40, v16, v17
	v_sub_f16_e32 v41, v13, v11
	v_fmac_f16_e32 v39, 0x3b9c, v14
	v_fmac_f16_e32 v35, 0xbb9c, v19
	;; [unrolled: 1-line block ×3, first 2 shown]
	v_add_f16_e32 v15, v26, v15
	v_fmac_f16_e32 v38, 0x38b4, v19
	v_add_f16_e32 v26, v41, v40
	v_fmac_f16_e32 v39, 0xb8b4, v19
	v_fmac_f16_e32 v35, 0xb8b4, v14
	v_add_f16_e32 v5, v30, v5
	v_fmac_f16_e32 v36, 0xb8b4, v23
	v_fmac_f16_e32 v9, 0x38b4, v23
	;; [unrolled: 1-line block ×6, first 2 shown]
	v_add_f16_e32 v5, v28, v5
	v_fmac_f16_e32 v36, 0x34f2, v22
	v_fmac_f16_e32 v9, 0x34f2, v22
	v_mul_f16_e32 v14, 0xb8b4, v37
	v_mul_f16_e32 v15, 0xbb9c, v38
	;; [unrolled: 1-line block ×4, first 2 shown]
	v_add_f16_e32 v5, v32, v5
	v_add_f16_e32 v12, v12, v21
	v_fmac_f16_e32 v14, 0x3a79, v34
	v_fmac_f16_e32 v15, 0x34f2, v36
	v_fmamk_f16 v19, v9, 0xb4f2, v19
	v_fmamk_f16 v21, v6, 0xba79, v22
	v_add_f16_e32 v22, v12, v5
	v_add_f16_e32 v23, v27, v14
	;; [unrolled: 1-line block ×4, first 2 shown]
	v_mul_u32_u24_e32 v40, 10, v7
	v_add_f16_e32 v42, v0, v21
	v_sub_f16_e32 v43, v5, v12
	v_sub_f16_e32 v5, v27, v14
	v_sub_f16_e32 v15, v25, v15
	v_sub_f16_e32 v14, v8, v19
	v_sub_f16_e32 v12, v0, v21
	v_lshl_add_u32 v40, v40, 1, 0
	v_pack_b32_f16 v0, v26, v41
	v_pack_b32_f16 v8, v22, v23
	;; [unrolled: 1-line block ×5, first 2 shown]
	s_load_dwordx2 s[2:3], s[2:3], 0x0
	ds_write2_b32 v40, v8, v0 offset1:1
	ds_write2_b32 v40, v21, v19 offset0:2 offset1:3
	v_mad_i32_i24 v0, 0xffffffee, v7, v40
	ds_write_b32 v40, v22 offset:16
	s_waitcnt lgkmcnt(0)
	s_barrier
	buffer_gl0_inv
	ds_read_u16 v8, v0
	ds_read_u16 v27, v0 offset:600
	ds_read_u16 v26, v0 offset:1200
	;; [unrolled: 1-line block ×5, first 2 shown]
	v_mul_i32_i24_e32 v0, 0xffffffee, v7
	v_cmp_gt_u32_e64 s0, 0x78, v7
                                        ; implicit-def: $vgpr21
                                        ; implicit-def: $vgpr25
	v_add_nc_u32_e32 v0, v40, v0
	s_and_saveexec_b32 s1, s0
	s_cbranch_execz .LBB0_15
; %bb.14:
	ds_read_u16 v5, v0 offset:360
	ds_read_u16 v15, v0 offset:960
	;; [unrolled: 1-line block ×6, first 2 shown]
.LBB0_15:
	s_or_b32 exec_lo, exec_lo, s1
	v_add_f16_e32 v41, v31, v10
	v_add_f16_e32 v42, v24, v29
	;; [unrolled: 1-line block ×3, first 2 shown]
	v_sub_f16_e32 v28, v30, v28
	v_sub_f16_e32 v32, v33, v32
	v_add_f16_e32 v41, v29, v41
	v_fma_f16 v42, -0.5, v42, v10
	v_fmac_f16_e32 v10, -0.5, v43
	v_sub_f16_e32 v33, v31, v29
	v_sub_f16_e32 v44, v20, v24
	v_add_f16_e32 v30, v24, v41
	v_sub_f16_e32 v29, v29, v31
	v_fmamk_f16 v43, v28, 0xbb9c, v10
	v_fmac_f16_e32 v10, 0x3b9c, v28
	v_add_f16_e32 v17, v17, v18
	v_add_f16_e32 v30, v20, v30
	v_sub_f16_e32 v20, v24, v20
	v_fmamk_f16 v41, v32, 0x3b9c, v42
	v_fmac_f16_e32 v43, 0x38b4, v32
	v_fmac_f16_e32 v10, 0xb8b4, v32
	v_add_f16_e32 v16, v16, v17
	v_add_f16_e32 v18, v20, v29
	v_fmac_f16_e32 v42, 0xbb9c, v32
	v_add_f16_e32 v33, v44, v33
	v_fmac_f16_e32 v41, 0x38b4, v28
	;; [unrolled: 2-line block ×3, first 2 shown]
	v_fmac_f16_e32 v10, 0x34f2, v18
	v_mul_f16_e32 v16, 0x38b4, v34
	v_mul_f16_e32 v17, 0x3b9c, v36
	;; [unrolled: 1-line block ×3, first 2 shown]
	v_fmac_f16_e32 v42, 0xb8b4, v28
	v_mul_f16_e32 v20, 0x3a79, v35
	v_fmac_f16_e32 v41, 0x34f2, v33
	v_add_f16_e32 v11, v11, v13
	v_fmac_f16_e32 v16, 0x3a79, v37
	v_fmac_f16_e32 v17, 0x34f2, v38
	v_fma_f16 v9, v9, 0x3b9c, -v18
	v_fmac_f16_e32 v42, 0x34f2, v33
	v_fma_f16 v13, v6, 0x38b4, -v20
	v_add_f16_e32 v20, v11, v30
	v_add_f16_e32 v24, v41, v16
	;; [unrolled: 1-line block ×5, first 2 shown]
	v_sub_f16_e32 v11, v30, v11
	v_sub_f16_e32 v6, v41, v16
	;; [unrolled: 1-line block ×5, first 2 shown]
	v_pack_b32_f16 v10, v28, v29
	v_pack_b32_f16 v13, v20, v24
	;; [unrolled: 1-line block ×5, first 2 shown]
	s_waitcnt lgkmcnt(0)
	s_barrier
	buffer_gl0_inv
	ds_write2_b32 v40, v13, v10 offset1:1
	ds_write2_b32 v40, v11, v16 offset0:2 offset1:3
	ds_write_b32 v40, v20 offset:16
	s_waitcnt lgkmcnt(0)
	s_barrier
	buffer_gl0_inv
	ds_read_u16 v11, v0
	ds_read_u16 v33, v0 offset:600
	ds_read_u16 v32, v0 offset:1200
	;; [unrolled: 1-line block ×5, first 2 shown]
                                        ; implicit-def: $vgpr20
                                        ; implicit-def: $vgpr24
	s_and_saveexec_b32 s1, s0
	s_cbranch_execz .LBB0_17
; %bb.16:
	ds_read_u16 v6, v0 offset:360
	ds_read_u16 v18, v0 offset:960
	;; [unrolled: 1-line block ×6, first 2 shown]
.LBB0_17:
	s_or_b32 exec_lo, exec_lo, s1
	v_and_b32_e32 v13, 0xff, v7
	v_add_nc_u32_e32 v10, 0xb4, v7
	v_mov_b32_e32 v28, 0xcccd
	v_mov_b32_e32 v35, 5
	v_mov_b32_e32 v40, 1
	v_mul_lo_u16 v16, 0xcd, v13
	v_lshrrev_b16 v34, 11, v16
	v_mul_u32_u24_sdwa v16, v10, v28 dst_sel:DWORD dst_unused:UNUSED_PAD src0_sel:WORD_0 src1_sel:DWORD
	v_mul_lo_u16 v28, v34, 10
	v_lshrrev_b32_e32 v36, 19, v16
	v_sub_nc_u16 v28, v7, v28
	v_mul_lo_u16 v16, v36, 10
	v_mul_u32_u24_sdwa v37, v28, v35 dst_sel:DWORD dst_unused:UNUSED_PAD src0_sel:BYTE_0 src1_sel:DWORD
	v_sub_nc_u16 v16, v10, v16
	v_lshlrev_b32_e32 v37, 2, v37
	v_mul_u32_u24_sdwa v35, v16, v35 dst_sel:DWORD dst_unused:UNUSED_PAD src0_sel:WORD_0 src1_sel:DWORD
	global_load_dwordx4 v[44:47], v37, s[8:9]
	v_lshlrev_b32_e32 v35, 2, v35
	s_clause 0x2
	global_load_dword v52, v37, s[8:9] offset:16
	global_load_dwordx4 v[48:51], v35, s[8:9]
	global_load_dword v53, v35, s[8:9] offset:16
	v_mov_b32_e32 v35, 0x78
	s_waitcnt vmcnt(0) lgkmcnt(0)
	s_barrier
	buffer_gl0_inv
	v_mul_u32_u24_sdwa v34, v34, v35 dst_sel:DWORD dst_unused:UNUSED_PAD src0_sel:WORD_0 src1_sel:DWORD
	v_lshlrev_b32_sdwa v35, v40, v28 dst_sel:DWORD dst_unused:UNUSED_PAD src0_sel:DWORD src1_sel:BYTE_0
	v_mul_lo_u16 v28, v36, 60
	v_add3_u32 v34, 0, v34, v35
	v_mul_f16_sdwa v35, v33, v44 dst_sel:DWORD dst_unused:UNUSED_PAD src0_sel:DWORD src1_sel:WORD_1
	v_mul_f16_sdwa v38, v32, v45 dst_sel:DWORD dst_unused:UNUSED_PAD src0_sel:DWORD src1_sel:WORD_1
	;; [unrolled: 1-line block ×18, first 2 shown]
	v_fmac_f16_e32 v35, v27, v44
	v_fmac_f16_e32 v38, v26, v45
	;; [unrolled: 1-line block ×3, first 2 shown]
	v_fma_f16 v23, v31, v46, -v57
	v_fmac_f16_e32 v39, v22, v47
	v_fma_f16 v22, v30, v47, -v58
	v_fmac_f16_e32 v59, v19, v52
	v_fma_f16 v19, v29, v52, -v60
	v_fma_f16 v30, v9, v50, -v63
	v_fma_f16 v27, v20, v53, -v65
	v_mul_f16_sdwa v42, v18, v48 dst_sel:DWORD dst_unused:UNUSED_PAD src0_sel:DWORD src1_sel:WORD_1
	v_mul_f16_sdwa v64, v25, v51 dst_sel:DWORD dst_unused:UNUSED_PAD src0_sel:DWORD src1_sel:WORD_1
	v_fma_f16 v33, v33, v44, -v54
	v_fma_f16 v32, v32, v45, -v55
	;; [unrolled: 1-line block ×3, first 2 shown]
	v_fmac_f16_e32 v36, v14, v49
	v_fma_f16 v29, v17, v49, -v62
	v_fmac_f16_e32 v43, v12, v50
	v_fmac_f16_e32 v37, v25, v51
	;; [unrolled: 1-line block ×3, first 2 shown]
	v_add_f16_e32 v12, v38, v39
	v_add_f16_e32 v14, v35, v56
	;; [unrolled: 1-line block ×5, first 2 shown]
	v_fmac_f16_e32 v42, v15, v48
	v_fma_f16 v25, v24, v51, -v64
	v_add_f16_e32 v9, v8, v38
	v_sub_f16_e32 v15, v32, v22
	v_sub_f16_e32 v20, v23, v19
	;; [unrolled: 1-line block ×3, first 2 shown]
	v_add_f16_e32 v21, v36, v37
	v_add_f16_e32 v44, v43, v41
	v_sub_f16_e32 v47, v43, v41
	v_fmac_f16_e32 v8, -0.5, v12
	v_add_f16_e32 v48, v14, v59
	v_fmac_f16_e32 v35, -0.5, v17
	v_fma_f16 v17, -0.5, v18, v33
	v_fma_f16 v14, -0.5, v46, v26
	v_sub_f16_e32 v31, v29, v25
	v_sub_f16_e32 v45, v30, v27
	v_add_f16_e32 v9, v9, v39
	v_fma_f16 v21, -0.5, v21, v5
	v_fma_f16 v12, -0.5, v44, v42
	v_fmamk_f16 v46, v15, 0xbaee, v8
	v_fmac_f16_e32 v8, 0x3aee, v15
	v_fmamk_f16 v18, v20, 0xbaee, v35
	v_fmac_f16_e32 v35, 0x3aee, v20
	;; [unrolled: 2-line block ×4, first 2 shown]
	v_add_f16_e32 v49, v9, v48
	v_sub_f16_e32 v9, v9, v48
	v_fmamk_f16 v24, v31, 0xbaee, v21
	v_fmac_f16_e32 v21, 0x3aee, v31
	v_fmamk_f16 v31, v45, 0xbaee, v12
	v_fmac_f16_e32 v12, 0x3aee, v45
	v_mul_f16_e32 v47, 0xbaee, v20
	v_mul_f16_e32 v48, 0xbaee, v17
	;; [unrolled: 1-line block ×4, first 2 shown]
	ds_write_b16 v34, v49
	v_fmac_f16_e32 v47, 0.5, v18
	v_fmac_f16_e32 v48, -0.5, v35
	v_fmac_f16_e32 v45, 0.5, v31
	v_fmac_f16_e32 v44, -0.5, v12
	ds_write_b16 v34, v9 offset:60
	v_add_f16_e32 v49, v46, v47
	v_add_f16_e32 v50, v8, v48
	v_sub_f16_e32 v46, v46, v47
	v_sub_f16_e32 v47, v8, v48
	;; [unrolled: 1-line block ×4, first 2 shown]
	ds_write_b16 v34, v49 offset:20
	ds_write_b16 v34, v50 offset:40
	;; [unrolled: 1-line block ×4, first 2 shown]
	s_and_saveexec_b32 s1, s0
	s_cbranch_execz .LBB0_19
; %bb.18:
	v_add_f16_e32 v5, v5, v36
	v_add_f16_e32 v42, v42, v43
	v_lshlrev_b32_sdwa v43, v40, v16 dst_sel:DWORD dst_unused:UNUSED_PAD src0_sel:DWORD src1_sel:WORD_0
	v_lshlrev_b32_sdwa v40, v40, v28 dst_sel:DWORD dst_unused:UNUSED_PAD src0_sel:DWORD src1_sel:WORD_0
	v_add_f16_e32 v24, v24, v45
	v_add_f16_e32 v5, v5, v37
	;; [unrolled: 1-line block ×4, first 2 shown]
	v_add3_u32 v40, 0, v43, v40
	v_add_f16_e32 v42, v5, v41
	v_sub_f16_e32 v5, v5, v41
	ds_write_b16 v40, v24 offset:20
	ds_write_b16 v40, v21 offset:40
	;; [unrolled: 1-line block ×3, first 2 shown]
	ds_write_b16 v40, v42
	ds_write_b16 v40, v5 offset:60
	ds_write_b16 v40, v8 offset:100
.LBB0_19:
	s_or_b32 exec_lo, exec_lo, s1
	v_add_f16_e32 v5, v32, v22
	v_add_f16_e32 v21, v11, v32
	v_sub_f16_e32 v24, v38, v39
	v_add_f16_e32 v23, v33, v23
	v_mul_f16_e32 v38, 0.5, v20
	v_fmac_f16_e32 v11, -0.5, v5
	v_add_f16_e32 v5, v29, v25
	v_mul_f16_e32 v39, -0.5, v17
	v_add_f16_e32 v40, v21, v22
	v_add_f16_e32 v41, v23, v19
	v_fmac_f16_e32 v38, 0x3aee, v18
	v_fma_f16 v32, -0.5, v5, v6
	v_lshl_add_u32 v5, v7, 1, 0
	v_fmamk_f16 v42, v24, 0x3aee, v11
	v_fmac_f16_e32 v39, 0x3aee, v35
	v_fmac_f16_e32 v11, 0xbaee, v24
	v_mul_f16_e32 v33, 0.5, v15
	v_mul_f16_e32 v35, -0.5, v14
	s_waitcnt lgkmcnt(0)
	s_barrier
	buffer_gl0_inv
	ds_read_u16 v23, v5 offset:360
	ds_read_u16 v22, v5 offset:720
	;; [unrolled: 1-line block ×6, first 2 shown]
	ds_read_u16 v14, v0
	ds_read_u16 v24, v5 offset:1080
	ds_read_u16 v19, v0 offset:2880
	;; [unrolled: 1-line block ×3, first 2 shown]
	v_sub_f16_e32 v37, v36, v37
	v_fmac_f16_e32 v33, 0x3aee, v31
	v_fmac_f16_e32 v35, 0x3aee, v12
	v_add_f16_e32 v43, v40, v41
	v_add_f16_e32 v44, v42, v38
	v_fmamk_f16 v36, v37, 0x3aee, v32
	v_fmac_f16_e32 v32, 0xbaee, v37
	v_add_f16_e32 v45, v11, v39
	v_sub_f16_e32 v37, v42, v38
	v_sub_f16_e32 v38, v11, v39
	;; [unrolled: 1-line block ×5, first 2 shown]
	s_waitcnt lgkmcnt(0)
	s_barrier
	buffer_gl0_inv
	ds_write_b16 v34, v43
	ds_write_b16 v34, v44 offset:20
	ds_write_b16 v34, v45 offset:40
	;; [unrolled: 1-line block ×5, first 2 shown]
	s_and_saveexec_b32 s1, s0
	s_cbranch_execz .LBB0_21
; %bb.20:
	v_add_f16_e32 v6, v6, v29
	v_add_f16_e32 v26, v26, v30
	v_mov_b32_e32 v29, 1
	v_add_f16_e32 v6, v6, v25
	v_add_f16_e32 v25, v26, v27
	v_lshlrev_b32_sdwa v16, v29, v16 dst_sel:DWORD dst_unused:UNUSED_PAD src0_sel:DWORD src1_sel:WORD_0
	v_lshlrev_b32_sdwa v26, v29, v28 dst_sel:DWORD dst_unused:UNUSED_PAD src0_sel:DWORD src1_sel:WORD_0
	v_add_f16_e32 v28, v32, v35
	v_add_f16_e32 v27, v6, v25
	v_sub_f16_e32 v6, v6, v25
	v_add3_u32 v16, 0, v16, v26
	v_add_f16_e32 v26, v36, v33
	ds_write_b16 v16, v27
	ds_write_b16 v16, v26 offset:20
	ds_write_b16 v16, v28 offset:40
	;; [unrolled: 1-line block ×5, first 2 shown]
.LBB0_21:
	s_or_b32 exec_lo, exec_lo, s1
	v_mul_lo_u16 v6, 0x89, v13
	v_mov_b32_e32 v16, 9
	s_waitcnt lgkmcnt(0)
	s_barrier
	buffer_gl0_inv
	v_lshrrev_b16 v6, 13, v6
	v_mov_b32_e32 v25, 0x4b0
	v_mov_b32_e32 v26, 1
	v_cmp_gt_u32_e64 s0, 60, v7
	v_mul_lo_u16 v13, v6, 60
	v_mul_u32_u24_sdwa v6, v6, v25 dst_sel:DWORD dst_unused:UNUSED_PAD src0_sel:WORD_0 src1_sel:DWORD
	v_sub_nc_u16 v13, v7, v13
	v_mul_u32_u24_sdwa v16, v13, v16 dst_sel:DWORD dst_unused:UNUSED_PAD src0_sel:BYTE_0 src1_sel:DWORD
	v_lshlrev_b32_sdwa v13, v26, v13 dst_sel:DWORD dst_unused:UNUSED_PAD src0_sel:DWORD src1_sel:BYTE_0
	v_lshlrev_b32_e32 v16, 2, v16
	v_add3_u32 v6, 0, v6, v13
	s_clause 0x2
	global_load_dwordx4 v[34:37], v16, s[8:9] offset:200
	global_load_dwordx4 v[43:46], v16, s[8:9] offset:216
	global_load_dword v16, v16, s[8:9] offset:232
	ds_read_u16 v27, v5 offset:360
	ds_read_u16 v28, v5 offset:720
	ds_read_u16 v29, v5 offset:1080
	ds_read_u16 v39, v0 offset:1440
	ds_read_u16 v40, v0 offset:1800
	ds_read_u16 v41, v0 offset:2160
	ds_read_u16 v47, v0 offset:2520
	ds_read_u16 v25, v0
	ds_read_u16 v48, v0 offset:2880
	ds_read_u16 v49, v0 offset:3240
	s_waitcnt vmcnt(0) lgkmcnt(0)
	s_barrier
	buffer_gl0_inv
	v_mul_f16_sdwa v38, v28, v35 dst_sel:DWORD dst_unused:UNUSED_PAD src0_sel:DWORD src1_sel:WORD_1
	v_mul_f16_sdwa v30, v22, v35 dst_sel:DWORD dst_unused:UNUSED_PAD src0_sel:DWORD src1_sel:WORD_1
	;; [unrolled: 1-line block ×16, first 2 shown]
	v_fmac_f16_e32 v38, v22, v35
	v_fma_f16 v32, v28, v35, -v30
	v_fmac_f16_e32 v50, v24, v36
	v_fma_f16 v30, v29, v36, -v51
	v_fmac_f16_e32 v31, v21, v37
	v_fmac_f16_e32 v53, v20, v43
	v_fma_f16 v29, v40, v43, -v54
	v_fmac_f16_e32 v33, v18, v44
	;; [unrolled: 3-line block ×3, first 2 shown]
	v_fmac_f16_e32 v59, v17, v16
	v_fma_f16 v24, v49, v16, -v60
	v_mul_f16_sdwa v55, v18, v44 dst_sel:DWORD dst_unused:UNUSED_PAD src0_sel:DWORD src1_sel:WORD_1
	v_mul_f16_sdwa v58, v19, v46 dst_sel:DWORD dst_unused:UNUSED_PAD src0_sel:DWORD src1_sel:WORD_1
	v_fmac_f16_e32 v26, v23, v34
	v_fma_f16 v27, v27, v34, -v13
	v_fma_f16 v34, v39, v37, -v52
	v_sub_f16_e32 v18, v38, v31
	v_sub_f16_e32 v19, v42, v33
	;; [unrolled: 1-line block ×6, first 2 shown]
	v_add_f16_e32 v45, v29, v28
	v_add_f16_e32 v52, v30, v24
	v_fma_f16 v35, v41, v44, -v55
	v_fma_f16 v37, v48, v46, -v58
	v_add_f16_e32 v13, v14, v38
	v_add_f16_e32 v15, v31, v33
	v_add_f16_e32 v20, v38, v42
	v_add_f16_e32 v23, v26, v50
	v_add_f16_e32 v36, v53, v56
	v_sub_f16_e32 v48, v50, v59
	v_add_f16_e32 v18, v18, v19
	v_add_f16_e32 v19, v21, v22
	;; [unrolled: 1-line block ×3, first 2 shown]
	v_fma_f16 v39, -0.5, v45, v27
	v_add_f16_e32 v41, v50, v59
	v_sub_f16_e32 v43, v53, v50
	v_sub_f16_e32 v44, v56, v59
	;; [unrolled: 1-line block ×3, first 2 shown]
	v_fma_f16 v40, -0.5, v52, v27
	v_sub_f16_e32 v17, v34, v35
	v_sub_f16_e32 v46, v30, v24
	;; [unrolled: 1-line block ×4, first 2 shown]
	v_add_f16_e32 v13, v13, v31
	v_fma_f16 v15, -0.5, v15, v14
	v_fmac_f16_e32 v14, -0.5, v20
	v_add_f16_e32 v20, v23, v53
	v_fma_f16 v36, -0.5, v36, v26
	v_fmamk_f16 v45, v48, 0x3b9c, v39
	v_sub_f16_e32 v16, v32, v37
	v_sub_f16_e32 v47, v29, v28
	;; [unrolled: 1-line block ×4, first 2 shown]
	v_fmac_f16_e32 v26, -0.5, v41
	v_add_f16_e32 v22, v43, v44
	v_fmamk_f16 v44, v49, 0xbb9c, v40
	v_fmac_f16_e32 v40, 0x3b9c, v49
	v_fmac_f16_e32 v39, 0xbb9c, v48
	v_add_f16_e32 v23, v50, v51
	v_add_f16_e32 v13, v13, v33
	v_fmamk_f16 v52, v17, 0x3b9c, v14
	v_fmac_f16_e32 v14, 0xbb9c, v17
	v_add_f16_e32 v20, v20, v56
	v_fmamk_f16 v41, v46, 0xbb9c, v36
	v_fmac_f16_e32 v45, 0x38b4, v49
	;; [unrolled: 3-line block ×3, first 2 shown]
	v_fmamk_f16 v43, v47, 0x3b9c, v26
	v_fmac_f16_e32 v44, 0x38b4, v48
	v_fmac_f16_e32 v26, 0xbb9c, v47
	;; [unrolled: 1-line block ×5, first 2 shown]
	v_add_f16_e32 v13, v13, v42
	v_fmac_f16_e32 v52, 0xb8b4, v16
	v_fmac_f16_e32 v14, 0x38b4, v16
	v_add_f16_e32 v16, v20, v59
	v_fmac_f16_e32 v41, 0xb8b4, v47
	v_fmac_f16_e32 v45, 0x34f2, v23
	;; [unrolled: 1-line block ×11, first 2 shown]
	v_add_f16_e32 v17, v13, v16
	v_sub_f16_e32 v13, v13, v16
	v_mul_f16_e32 v16, 0xb8b4, v45
	v_fmac_f16_e32 v51, 0x34f2, v18
	v_fmac_f16_e32 v15, 0x34f2, v18
	;; [unrolled: 1-line block ×3, first 2 shown]
	v_mul_f16_e32 v18, 0xbb9c, v44
	v_fmac_f16_e32 v52, 0x34f2, v19
	v_fmac_f16_e32 v14, 0x34f2, v19
	;; [unrolled: 1-line block ×3, first 2 shown]
	v_mul_f16_e32 v19, 0xbb9c, v40
	v_fmac_f16_e32 v36, 0x34f2, v21
	v_mul_f16_e32 v20, 0xb8b4, v39
	v_fmac_f16_e32 v16, 0x3a79, v41
	v_fmac_f16_e32 v18, 0x34f2, v43
	ds_write_b16 v6, v17
	v_fmamk_f16 v17, v26, 0xb4f2, v19
	v_fmamk_f16 v19, v36, 0xba79, v20
	v_add_f16_e32 v20, v51, v16
	v_add_f16_e32 v21, v52, v18
	v_sub_f16_e32 v16, v51, v16
	v_add_f16_e32 v22, v14, v17
	v_add_f16_e32 v23, v15, v19
	v_sub_f16_e32 v18, v52, v18
	ds_write_b16 v6, v13 offset:600
	v_sub_f16_e32 v14, v14, v17
	v_sub_f16_e32 v13, v15, v19
	ds_write_b16 v6, v20 offset:120
	ds_write_b16 v6, v21 offset:240
	;; [unrolled: 1-line block ×8, first 2 shown]
	s_waitcnt lgkmcnt(0)
	s_barrier
	buffer_gl0_inv
	ds_read_u16 v15, v5 offset:360
	ds_read_u16 v17, v0 offset:1200
	;; [unrolled: 1-line block ×6, first 2 shown]
	ds_read_u16 v16, v0
	ds_read_u16 v19, v5 offset:720
	ds_read_u16 v23, v0 offset:3120
	s_and_saveexec_b32 s1, s0
	s_cbranch_execz .LBB0_23
; %bb.22:
	ds_read_u16 v13, v5 offset:1080
	ds_read_u16 v9, v0 offset:2280
	;; [unrolled: 1-line block ×3, first 2 shown]
.LBB0_23:
	s_or_b32 exec_lo, exec_lo, s1
	v_add_f16_e32 v46, v34, v35
	v_add_f16_e32 v47, v32, v37
	;; [unrolled: 1-line block ×3, first 2 shown]
	v_sub_f16_e32 v31, v31, v33
	v_add_f16_e32 v27, v27, v30
	v_fma_f16 v46, -0.5, v46, v25
	v_fmac_f16_e32 v25, -0.5, v47
	v_sub_f16_e32 v38, v38, v42
	v_sub_f16_e32 v42, v32, v34
	v_add_f16_e32 v14, v14, v34
	v_sub_f16_e32 v32, v34, v32
	v_fmamk_f16 v47, v31, 0xbb9c, v25
	v_sub_f16_e32 v34, v35, v37
	v_fmac_f16_e32 v25, 0x3b9c, v31
	v_add_f16_e32 v27, v27, v29
	v_sub_f16_e32 v48, v37, v35
	v_fmamk_f16 v33, v38, 0x3b9c, v46
	v_fmac_f16_e32 v47, 0x38b4, v38
	v_add_f16_e32 v30, v32, v34
	v_fmac_f16_e32 v25, 0xb8b4, v38
	v_fmac_f16_e32 v46, 0xbb9c, v38
	v_add_f16_e32 v14, v14, v35
	v_add_f16_e32 v27, v27, v28
	v_add_f16_e32 v42, v42, v48
	v_fmac_f16_e32 v33, 0x38b4, v31
	v_mul_f16_e32 v28, 0x3a79, v45
	v_mul_f16_e32 v29, 0x34f2, v44
	v_fmac_f16_e32 v47, 0x34f2, v30
	v_fmac_f16_e32 v25, 0x34f2, v30
	v_mul_f16_e32 v30, 0x34f2, v40
	v_fmac_f16_e32 v46, 0xb8b4, v31
	v_mul_f16_e32 v31, 0x3a79, v39
	v_add_f16_e32 v14, v14, v37
	v_add_f16_e32 v24, v27, v24
	v_fmac_f16_e32 v33, 0x34f2, v42
	v_fmac_f16_e32 v28, 0x38b4, v41
	;; [unrolled: 1-line block ×3, first 2 shown]
	v_fma_f16 v26, v26, 0x3b9c, -v30
	v_fmac_f16_e32 v46, 0x34f2, v42
	v_fma_f16 v27, v36, 0x38b4, -v31
	v_add_f16_e32 v30, v14, v24
	v_add_f16_e32 v31, v33, v28
	;; [unrolled: 1-line block ×5, first 2 shown]
	v_sub_f16_e32 v24, v14, v24
	v_sub_f16_e32 v28, v33, v28
	;; [unrolled: 1-line block ×5, first 2 shown]
	s_waitcnt lgkmcnt(0)
	s_barrier
	buffer_gl0_inv
	ds_write_b16 v6, v30
	ds_write_b16 v6, v31 offset:120
	ds_write_b16 v6, v32 offset:240
	;; [unrolled: 1-line block ×9, first 2 shown]
	s_waitcnt lgkmcnt(0)
	s_barrier
	buffer_gl0_inv
	ds_read_u16 v24, v5 offset:360
	ds_read_u16 v26, v0 offset:1200
	;; [unrolled: 1-line block ×6, first 2 shown]
	ds_read_u16 v25, v0
	ds_read_u16 v28, v5 offset:720
	ds_read_u16 v32, v0 offset:3120
	s_and_saveexec_b32 s1, s0
	s_cbranch_execz .LBB0_25
; %bb.24:
	ds_read_u16 v14, v5 offset:1080
	ds_read_u16 v12, v0 offset:2280
	;; [unrolled: 1-line block ×3, first 2 shown]
.LBB0_25:
	s_or_b32 exec_lo, exec_lo, s1
	s_and_saveexec_b32 s1, vcc_lo
	s_cbranch_execz .LBB0_28
; %bb.26:
	v_lshlrev_b32_e32 v33, 1, v7
	v_mov_b32_e32 v6, 0
	v_add_nc_u32_e32 v43, 0xb4, v7
	v_add_nc_u32_e32 v44, 0x168, v7
	v_lshlrev_b64 v[39:40], 2, v[1:2]
	v_add_nc_u32_e32 v5, 0x2d0, v33
	v_mov_b32_e32 v34, v6
	v_mul_hi_u32 v1, 0x1b4e81b5, v43
	v_mul_hi_u32 v2, 0x1b4e81b5, v44
	v_mov_b32_e32 v41, v6
	v_lshlrev_b64 v[35:36], 2, v[5:6]
	v_lshlrev_b32_e32 v5, 1, v10
	v_lshlrev_b64 v[33:34], 2, v[33:34]
	v_mov_b32_e32 v42, v6
	v_lshrrev_b32_e32 v53, 6, v2
	v_add_co_u32 v0, vcc_lo, s8, v35
	v_add_co_ci_u32_e32 v10, vcc_lo, s9, v36, vcc_lo
	v_lshlrev_b64 v[35:36], 2, v[5:6]
	v_add_co_u32 v37, vcc_lo, 0x800, v0
	v_add_co_ci_u32_e32 v38, vcc_lo, 0, v10, vcc_lo
	v_add_co_u32 v0, vcc_lo, s8, v35
	v_add_co_ci_u32_e32 v5, vcc_lo, s9, v36, vcc_lo
	v_add_co_u32 v10, vcc_lo, s8, v33
	global_load_dwordx2 v[35:36], v[37:38], off offset:312
	v_add_co_ci_u32_e32 v38, vcc_lo, s9, v34, vcc_lo
	v_add_co_u32 v33, vcc_lo, 0x800, v0
	v_add_co_ci_u32_e32 v34, vcc_lo, 0, v5, vcc_lo
	v_add_co_u32 v37, vcc_lo, 0x800, v10
	v_add_co_ci_u32_e32 v38, vcc_lo, 0, v38, vcc_lo
	s_clause 0x1
	global_load_dwordx2 v[33:34], v[33:34], off offset:312
	global_load_dwordx2 v[37:38], v[37:38], off offset:312
	v_mul_lo_u32 v5, s3, v3
	v_mul_lo_u32 v10, s2, v4
	v_mad_u64_u32 v[3:4], null, s2, v3, 0
	v_mul_hi_u32 v0, 0x1b4e81b5, v7
	v_add3_u32 v4, v4, v10, v5
	v_lshrrev_b32_e32 v10, 6, v1
	v_lshrrev_b32_e32 v45, 6, v0
	v_add_nc_u32_e32 v0, 0x21c, v7
	v_lshlrev_b64 v[1:2], 2, v[3:4]
	v_mul_u32_u24_e32 v4, 0x258, v10
	v_mul_u32_u24_e32 v5, 0x258, v45
	v_cmp_gt_u32_e32 vcc_lo, 0x258, v0
	v_add_co_u32 v1, s1, s14, v1
	v_sub_nc_u32_e32 v3, v7, v5
	v_mul_u32_u24_e32 v5, 0x258, v53
	v_sub_nc_u32_e32 v4, v43, v4
	v_add_co_ci_u32_e64 v45, s1, s15, v2, s1
	v_add_co_u32 v2, s1, v1, v39
	v_sub_nc_u32_e32 v54, v44, v5
	v_mad_u32_u24 v5, 0x708, v10, v4
	v_lshlrev_b32_e32 v46, 2, v3
	v_add_co_ci_u32_e64 v3, s1, v45, v40, s1
	v_add_nc_u32_e32 v40, 0x258, v5
	v_add_co_u32 v43, s1, v2, v46
	v_add_co_ci_u32_e64 v44, s1, 0, v3, s1
	v_lshlrev_b64 v[45:46], 2, v[5:6]
	v_add_nc_u32_e32 v5, 0x4b0, v5
	v_add_co_u32 v47, s1, 0x800, v43
	v_add_co_ci_u32_e64 v48, s1, 0, v44, s1
	v_lshlrev_b64 v[51:52], 2, v[5:6]
	v_mad_u32_u24 v5, 0x708, v53, v54
	v_add_co_u32 v49, s1, 0x1000, v43
	v_lshlrev_b64 v[39:40], 2, v[40:41]
	v_add_co_ci_u32_e64 v50, s1, 0, v44, s1
	v_add_co_u32 v45, s1, v2, v45
	v_add_nc_u32_e32 v41, 0x258, v5
	v_add_co_ci_u32_e64 v46, s1, v3, v46, s1
	v_lshlrev_b64 v[53:54], 2, v[5:6]
	v_add_co_u32 v39, s1, v2, v39
	v_add_nc_u32_e32 v5, 0x4b0, v5
	v_add_co_ci_u32_e64 v40, s1, v3, v40, s1
	v_add_co_u32 v51, s1, v2, v51
	v_lshlrev_b64 v[41:42], 2, v[41:42]
	v_add_co_ci_u32_e64 v52, s1, v3, v52, s1
	v_lshlrev_b64 v[4:5], 2, v[5:6]
	v_add_co_u32 v53, s1, v2, v53
	v_add_co_ci_u32_e64 v54, s1, v3, v54, s1
	v_add_co_u32 v41, s1, v2, v41
	v_add_co_ci_u32_e64 v42, s1, v3, v42, s1
	;; [unrolled: 2-line block ×3, first 2 shown]
	s_waitcnt vmcnt(2)
	v_mul_f16_sdwa v1, v22, v35 dst_sel:DWORD dst_unused:UNUSED_PAD src0_sel:DWORD src1_sel:WORD_1
	v_mul_f16_sdwa v10, v23, v36 dst_sel:DWORD dst_unused:UNUSED_PAD src0_sel:DWORD src1_sel:WORD_1
	s_waitcnt lgkmcnt(3)
	v_mul_f16_sdwa v55, v31, v35 dst_sel:DWORD dst_unused:UNUSED_PAD src0_sel:DWORD src1_sel:WORD_1
	s_waitcnt lgkmcnt(0)
	v_mul_f16_sdwa v56, v32, v36 dst_sel:DWORD dst_unused:UNUSED_PAD src0_sel:DWORD src1_sel:WORD_1
	v_fma_f16 v1, v31, v35, -v1
	v_fma_f16 v10, v32, v36, -v10
	v_fmac_f16_e32 v55, v22, v35
	v_fmac_f16_e32 v56, v23, v36
	v_add_f16_e32 v61, v28, v1
	v_add_f16_e32 v59, v1, v10
	s_waitcnt vmcnt(1)
	v_mul_f16_sdwa v22, v20, v33 dst_sel:DWORD dst_unused:UNUSED_PAD src0_sel:DWORD src1_sel:WORD_1
	v_mul_f16_sdwa v23, v21, v34 dst_sel:DWORD dst_unused:UNUSED_PAD src0_sel:DWORD src1_sel:WORD_1
	;; [unrolled: 1-line block ×4, first 2 shown]
	s_waitcnt vmcnt(0)
	v_mul_f16_sdwa v35, v17, v37 dst_sel:DWORD dst_unused:UNUSED_PAD src0_sel:DWORD src1_sel:WORD_1
	v_mul_f16_sdwa v36, v18, v38 dst_sel:DWORD dst_unused:UNUSED_PAD src0_sel:DWORD src1_sel:WORD_1
	;; [unrolled: 1-line block ×4, first 2 shown]
	v_add_f16_e32 v62, v55, v56
	v_fma_f16 v22, v29, v33, -v22
	v_fma_f16 v23, v30, v34, -v23
	v_fmac_f16_e32 v31, v20, v33
	v_fmac_f16_e32 v32, v21, v34
	v_fma_f16 v20, v26, v37, -v35
	v_fma_f16 v21, v27, v38, -v36
	v_fmac_f16_e32 v57, v17, v37
	v_fmac_f16_e32 v58, v18, v38
	v_sub_f16_e32 v60, v55, v56
	v_sub_f16_e32 v1, v1, v10
	v_add_f16_e32 v55, v19, v55
	v_fma_f16 v18, -0.5, v62, v19
	v_add_f16_e32 v26, v22, v23
	v_sub_f16_e32 v27, v31, v32
	v_add_f16_e32 v29, v31, v32
	v_add_f16_e32 v30, v15, v31
	;; [unrolled: 1-line block ×4, first 2 shown]
	v_fma_f16 v17, -0.5, v59, v28
	v_add_f16_e32 v10, v61, v10
	v_add_f16_e32 v19, v55, v56
	;; [unrolled: 1-line block ×3, first 2 shown]
	v_sub_f16_e32 v22, v22, v23
	v_sub_f16_e32 v33, v57, v58
	v_add_f16_e32 v34, v25, v20
	v_sub_f16_e32 v20, v20, v21
	v_add_f16_e32 v36, v16, v57
	v_fmamk_f16 v38, v1, 0x3aee, v18
	v_fmac_f16_e32 v18, 0xbaee, v1
	v_fma_f16 v1, -0.5, v26, v24
	v_fma_f16 v15, -0.5, v29, v15
	;; [unrolled: 1-line block ×4, first 2 shown]
	v_add_f16_e32 v23, v28, v23
	v_add_f16_e32 v21, v34, v21
	v_add_f16_e32 v26, v36, v58
	v_pack_b32_f16 v10, v19, v10
	v_fmamk_f16 v19, v27, 0xbaee, v1
	v_fmac_f16_e32 v1, 0x3aee, v27
	v_fmamk_f16 v27, v22, 0x3aee, v15
	v_fmac_f16_e32 v15, 0xbaee, v22
	;; [unrolled: 2-line block ×4, first 2 shown]
	v_add_f16_e32 v24, v30, v32
	v_fmamk_f16 v37, v60, 0xbaee, v17
	v_fmac_f16_e32 v17, 0x3aee, v60
	v_pack_b32_f16 v20, v26, v21
	v_pack_b32_f16 v16, v16, v25
	;; [unrolled: 1-line block ×8, first 2 shown]
	global_store_dword v[43:44], v20, off
	global_store_dword v[47:48], v16, off offset:352
	global_store_dword v[49:50], v22, off offset:704
	global_store_dword v[45:46], v21, off
	global_store_dword v[39:40], v1, off
	;; [unrolled: 1-line block ×6, first 2 shown]
	s_and_b32 exec_lo, exec_lo, vcc_lo
	s_cbranch_execz .LBB0_28
; %bb.27:
	v_mov_b32_e32 v1, 0x21c
	v_cndmask_b32_e64 v1, 0xffffffc4, v1, s0
	v_add_lshl_u32 v5, v7, v1, 1
	v_lshlrev_b64 v[4:5], 2, v[5:6]
	v_add_co_u32 v1, vcc_lo, s8, v4
	v_add_co_ci_u32_e32 v5, vcc_lo, s9, v5, vcc_lo
	v_add_co_u32 v4, vcc_lo, 0x800, v1
	v_add_co_ci_u32_e32 v5, vcc_lo, 0, v5, vcc_lo
	v_mov_b32_e32 v1, v6
	global_load_dwordx2 v[15:16], v[4:5], off offset:312
	v_add_nc_u32_e32 v5, 0x474, v7
	v_lshlrev_b64 v[0:1], 2, v[0:1]
	v_lshlrev_b64 v[17:18], 2, v[5:6]
	v_add_nc_u32_e32 v5, 0x6cc, v7
	v_add_co_u32 v0, vcc_lo, v2, v0
	v_add_co_ci_u32_e32 v1, vcc_lo, v3, v1, vcc_lo
	v_lshlrev_b64 v[4:5], 2, v[5:6]
	v_add_co_u32 v6, vcc_lo, v2, v17
	s_waitcnt vmcnt(0)
	v_mul_f16_sdwa v10, v12, v15 dst_sel:DWORD dst_unused:UNUSED_PAD src0_sel:DWORD src1_sel:WORD_1
	v_mul_f16_sdwa v7, v9, v15 dst_sel:DWORD dst_unused:UNUSED_PAD src0_sel:DWORD src1_sel:WORD_1
	;; [unrolled: 1-line block ×4, first 2 shown]
	v_fmac_f16_e32 v10, v9, v15
	v_fma_f16 v9, v12, v15, -v7
	v_fmac_f16_e32 v19, v8, v16
	v_fma_f16 v8, v11, v16, -v20
	v_add_co_ci_u32_e32 v7, vcc_lo, v3, v18, vcc_lo
	v_add_f16_e32 v12, v13, v10
	v_add_f16_e32 v11, v10, v19
	;; [unrolled: 1-line block ×3, first 2 shown]
	v_sub_f16_e32 v16, v9, v8
	v_add_f16_e32 v9, v14, v9
	v_sub_f16_e32 v10, v10, v19
	v_fmac_f16_e32 v13, -0.5, v11
	v_fmac_f16_e32 v14, -0.5, v15
	v_add_f16_e32 v11, v12, v19
	v_add_f16_e32 v8, v9, v8
	v_add_co_u32 v2, vcc_lo, v2, v4
	v_fmamk_f16 v9, v16, 0xbaee, v13
	v_fmamk_f16 v12, v10, 0x3aee, v14
	v_fmac_f16_e32 v13, 0x3aee, v16
	v_fmac_f16_e32 v14, 0xbaee, v10
	v_pack_b32_f16 v4, v11, v8
	v_add_co_ci_u32_e32 v3, vcc_lo, v3, v5, vcc_lo
	v_pack_b32_f16 v5, v9, v12
	v_pack_b32_f16 v8, v13, v14
	global_store_dword v[0:1], v4, off
	global_store_dword v[6:7], v5, off
	;; [unrolled: 1-line block ×3, first 2 shown]
.LBB0_28:
	s_endpgm
	.section	.rodata,"a",@progbits
	.p2align	6, 0x0
	.amdhsa_kernel fft_rtc_back_len1800_factors_10_6_10_3_wgs_180_tpt_180_halfLds_half_op_CI_CI_unitstride_sbrr_dirReg
		.amdhsa_group_segment_fixed_size 0
		.amdhsa_private_segment_fixed_size 0
		.amdhsa_kernarg_size 104
		.amdhsa_user_sgpr_count 6
		.amdhsa_user_sgpr_private_segment_buffer 1
		.amdhsa_user_sgpr_dispatch_ptr 0
		.amdhsa_user_sgpr_queue_ptr 0
		.amdhsa_user_sgpr_kernarg_segment_ptr 1
		.amdhsa_user_sgpr_dispatch_id 0
		.amdhsa_user_sgpr_flat_scratch_init 0
		.amdhsa_user_sgpr_private_segment_size 0
		.amdhsa_wavefront_size32 1
		.amdhsa_uses_dynamic_stack 0
		.amdhsa_system_sgpr_private_segment_wavefront_offset 0
		.amdhsa_system_sgpr_workgroup_id_x 1
		.amdhsa_system_sgpr_workgroup_id_y 0
		.amdhsa_system_sgpr_workgroup_id_z 0
		.amdhsa_system_sgpr_workgroup_info 0
		.amdhsa_system_vgpr_workitem_id 0
		.amdhsa_next_free_vgpr 66
		.amdhsa_next_free_sgpr 27
		.amdhsa_reserve_vcc 1
		.amdhsa_reserve_flat_scratch 0
		.amdhsa_float_round_mode_32 0
		.amdhsa_float_round_mode_16_64 0
		.amdhsa_float_denorm_mode_32 3
		.amdhsa_float_denorm_mode_16_64 3
		.amdhsa_dx10_clamp 1
		.amdhsa_ieee_mode 1
		.amdhsa_fp16_overflow 0
		.amdhsa_workgroup_processor_mode 1
		.amdhsa_memory_ordered 1
		.amdhsa_forward_progress 0
		.amdhsa_shared_vgpr_count 0
		.amdhsa_exception_fp_ieee_invalid_op 0
		.amdhsa_exception_fp_denorm_src 0
		.amdhsa_exception_fp_ieee_div_zero 0
		.amdhsa_exception_fp_ieee_overflow 0
		.amdhsa_exception_fp_ieee_underflow 0
		.amdhsa_exception_fp_ieee_inexact 0
		.amdhsa_exception_int_div_zero 0
	.end_amdhsa_kernel
	.text
.Lfunc_end0:
	.size	fft_rtc_back_len1800_factors_10_6_10_3_wgs_180_tpt_180_halfLds_half_op_CI_CI_unitstride_sbrr_dirReg, .Lfunc_end0-fft_rtc_back_len1800_factors_10_6_10_3_wgs_180_tpt_180_halfLds_half_op_CI_CI_unitstride_sbrr_dirReg
                                        ; -- End function
	.section	.AMDGPU.csdata,"",@progbits
; Kernel info:
; codeLenInByte = 7592
; NumSgprs: 29
; NumVgprs: 66
; ScratchSize: 0
; MemoryBound: 0
; FloatMode: 240
; IeeeMode: 1
; LDSByteSize: 0 bytes/workgroup (compile time only)
; SGPRBlocks: 3
; VGPRBlocks: 8
; NumSGPRsForWavesPerEU: 29
; NumVGPRsForWavesPerEU: 66
; Occupancy: 12
; WaveLimiterHint : 1
; COMPUTE_PGM_RSRC2:SCRATCH_EN: 0
; COMPUTE_PGM_RSRC2:USER_SGPR: 6
; COMPUTE_PGM_RSRC2:TRAP_HANDLER: 0
; COMPUTE_PGM_RSRC2:TGID_X_EN: 1
; COMPUTE_PGM_RSRC2:TGID_Y_EN: 0
; COMPUTE_PGM_RSRC2:TGID_Z_EN: 0
; COMPUTE_PGM_RSRC2:TIDIG_COMP_CNT: 0
	.text
	.p2alignl 6, 3214868480
	.fill 48, 4, 3214868480
	.type	__hip_cuid_94a5576dd58742e6,@object ; @__hip_cuid_94a5576dd58742e6
	.section	.bss,"aw",@nobits
	.globl	__hip_cuid_94a5576dd58742e6
__hip_cuid_94a5576dd58742e6:
	.byte	0                               ; 0x0
	.size	__hip_cuid_94a5576dd58742e6, 1

	.ident	"AMD clang version 19.0.0git (https://github.com/RadeonOpenCompute/llvm-project roc-6.4.0 25133 c7fe45cf4b819c5991fe208aaa96edf142730f1d)"
	.section	".note.GNU-stack","",@progbits
	.addrsig
	.addrsig_sym __hip_cuid_94a5576dd58742e6
	.amdgpu_metadata
---
amdhsa.kernels:
  - .args:
      - .actual_access:  read_only
        .address_space:  global
        .offset:         0
        .size:           8
        .value_kind:     global_buffer
      - .offset:         8
        .size:           8
        .value_kind:     by_value
      - .actual_access:  read_only
        .address_space:  global
        .offset:         16
        .size:           8
        .value_kind:     global_buffer
      - .actual_access:  read_only
        .address_space:  global
        .offset:         24
        .size:           8
        .value_kind:     global_buffer
      - .actual_access:  read_only
        .address_space:  global
        .offset:         32
        .size:           8
        .value_kind:     global_buffer
      - .offset:         40
        .size:           8
        .value_kind:     by_value
      - .actual_access:  read_only
        .address_space:  global
        .offset:         48
        .size:           8
        .value_kind:     global_buffer
      - .actual_access:  read_only
        .address_space:  global
        .offset:         56
        .size:           8
        .value_kind:     global_buffer
      - .offset:         64
        .size:           4
        .value_kind:     by_value
      - .actual_access:  read_only
        .address_space:  global
        .offset:         72
        .size:           8
        .value_kind:     global_buffer
      - .actual_access:  read_only
        .address_space:  global
        .offset:         80
        .size:           8
        .value_kind:     global_buffer
      - .actual_access:  read_only
        .address_space:  global
        .offset:         88
        .size:           8
        .value_kind:     global_buffer
      - .actual_access:  write_only
        .address_space:  global
        .offset:         96
        .size:           8
        .value_kind:     global_buffer
    .group_segment_fixed_size: 0
    .kernarg_segment_align: 8
    .kernarg_segment_size: 104
    .language:       OpenCL C
    .language_version:
      - 2
      - 0
    .max_flat_workgroup_size: 180
    .name:           fft_rtc_back_len1800_factors_10_6_10_3_wgs_180_tpt_180_halfLds_half_op_CI_CI_unitstride_sbrr_dirReg
    .private_segment_fixed_size: 0
    .sgpr_count:     29
    .sgpr_spill_count: 0
    .symbol:         fft_rtc_back_len1800_factors_10_6_10_3_wgs_180_tpt_180_halfLds_half_op_CI_CI_unitstride_sbrr_dirReg.kd
    .uniform_work_group_size: 1
    .uses_dynamic_stack: false
    .vgpr_count:     66
    .vgpr_spill_count: 0
    .wavefront_size: 32
    .workgroup_processor_mode: 1
amdhsa.target:   amdgcn-amd-amdhsa--gfx1030
amdhsa.version:
  - 1
  - 2
...

	.end_amdgpu_metadata
